;; amdgpu-corpus repo=ROCm/rocFFT kind=compiled arch=gfx906 opt=O3
	.text
	.amdgcn_target "amdgcn-amd-amdhsa--gfx906"
	.amdhsa_code_object_version 6
	.protected	fft_rtc_fwd_len121_factors_11_11_wgs_121_tpt_11_dp_op_CI_CI_sbrc_z_xy_aligned ; -- Begin function fft_rtc_fwd_len121_factors_11_11_wgs_121_tpt_11_dp_op_CI_CI_sbrc_z_xy_aligned
	.globl	fft_rtc_fwd_len121_factors_11_11_wgs_121_tpt_11_dp_op_CI_CI_sbrc_z_xy_aligned
	.p2align	8
	.type	fft_rtc_fwd_len121_factors_11_11_wgs_121_tpt_11_dp_op_CI_CI_sbrc_z_xy_aligned,@function
fft_rtc_fwd_len121_factors_11_11_wgs_121_tpt_11_dp_op_CI_CI_sbrc_z_xy_aligned: ; @fft_rtc_fwd_len121_factors_11_11_wgs_121_tpt_11_dp_op_CI_CI_sbrc_z_xy_aligned
; %bb.0:
	s_load_dwordx8 s[8:15], s[4:5], 0x0
	v_mov_b32_e32 v8, 0
	s_mov_b32 s30, 0xf8bb580b
	s_mov_b32 s42, 0x8eee2c13
	;; [unrolled: 1-line block ×3, first 2 shown]
	s_waitcnt lgkmcnt(0)
	s_load_dwordx4 s[0:3], s[12:13], 0x8
	s_load_dwordx4 s[20:23], s[14:15], 0x0
	s_waitcnt lgkmcnt(0)
	s_load_dword s3, s[14:15], 0x10
	s_mov_b32 s31, 0xbfe14ced
	s_mov_b32 s43, 0xbfed1bb4
	s_add_i32 s0, s0, -1
	s_mul_hi_u32 s0, s0, 0xba2e8ba3
	s_lshr_b32 s0, s0, 3
	s_add_i32 s1, s0, 1
	s_mul_i32 s2, s1, s2
	v_cvt_f32_u32_e32 v2, s2
	v_cvt_f32_u32_e32 v1, s1
	s_sub_i32 s7, 0, s2
	s_mov_b32 s29, 0xbfd207e7
	v_rcp_iflag_f32_e32 v2, v2
	v_rcp_iflag_f32_e32 v1, v1
	s_mov_b32 s26, 0x9bcd5057
	s_mov_b32 s27, 0xbfeeb42a
	v_mul_f32_e32 v2, 0x4f7ffffe, v2
	v_cvt_u32_f32_e32 v2, v2
	v_mul_f32_e32 v1, 0x4f7ffffe, v1
	v_cvt_u32_f32_e32 v1, v1
	s_mov_b32 s41, 0x3fd207e7
	v_readfirstlane_b32 s13, v2
	s_mul_i32 s7, s7, s13
	s_mul_hi_u32 s7, s13, s7
	s_add_i32 s13, s13, s7
	s_mul_hi_u32 s7, s6, s13
	s_mul_i32 s13, s7, s2
	s_sub_i32 s13, s6, s13
	s_add_i32 s16, s7, 1
	s_sub_i32 s17, s13, s2
	s_cmp_ge_u32 s13, s2
	s_cselect_b32 s7, s16, s7
	s_cselect_b32 s13, s17, s13
	s_add_i32 s16, s7, 1
	s_cmp_ge_u32 s13, s2
	v_readfirstlane_b32 s12, v1
	s_cselect_b32 s33, s16, s7
	s_not_b32 s0, s0
	s_mul_i32 s0, s0, s12
	s_mul_i32 s2, s33, s2
	s_mul_hi_u32 s0, s12, s0
	s_sub_i32 s2, s6, s2
	s_add_i32 s12, s12, s0
	s_mul_hi_u32 s0, s2, s12
	s_mul_i32 s7, s0, s1
	s_sub_i32 s2, s2, s7
	s_add_i32 s13, s0, 1
	s_sub_i32 s7, s2, s1
	s_cmp_ge_u32 s2, s1
	s_cselect_b32 s0, s13, s0
	s_cselect_b32 s2, s7, s2
	s_add_i32 s7, s0, 1
	s_cmp_ge_u32 s2, s1
	s_cselect_b32 s44, s7, s0
	s_mul_hi_u32 s0, s6, s12
	s_mul_i32 s0, s0, s1
	s_sub_i32 s0, s6, s0
	s_sub_i32 s2, s0, s1
	s_cmp_ge_u32 s0, s1
	s_load_dwordx2 s[12:13], s[4:5], 0x20
	s_cselect_b32 s0, s2, s0
	s_sub_i32 s2, s0, s1
	s_cmp_ge_u32 s0, s1
	s_cselect_b32 s6, s2, s0
	s_waitcnt lgkmcnt(0)
	s_mul_i32 s7, s44, s3
	s_load_dwordx4 s[0:3], s[4:5], 0x58
	s_load_dwordx4 s[16:19], s[12:13], 0x0
	s_mul_i32 s6, s6, 11
	s_mul_i32 s4, s6, s22
	s_add_i32 s4, s4, s7
	s_lshl_b64 s[10:11], s[10:11], 3
	s_waitcnt lgkmcnt(0)
	s_mul_i32 s5, s17, s6
	s_mul_hi_u32 s7, s16, s6
	s_add_i32 s7, s7, s5
	s_add_u32 s14, s14, s10
	s_addc_u32 s15, s15, s11
	s_load_dwordx2 s[14:15], s[14:15], 0x0
	v_mul_u32_u24_e32 v1, 0x21e, v0
	v_lshrrev_b32_e32 v27, 16, v1
	v_mul_lo_u16_e32 v1, 0x79, v27
	v_sub_u16_e32 v52, v0, v1
	s_waitcnt lgkmcnt(0)
	s_mul_i32 s15, s15, s33
	s_mul_hi_u32 s23, s14, s33
	s_add_i32 s15, s23, s15
	s_add_u32 s10, s12, s10
	s_addc_u32 s11, s13, s11
	s_load_dword s19, s[12:13], 0x10
	v_mad_u64_u32 v[1:2], s[24:25], s20, v52, 0
	s_load_dwordx2 s[10:11], s[10:11], 0x0
	s_mul_i32 s14, s14, s33
	v_mad_u64_u32 v[2:3], s[12:13], s21, v52, v[2:3]
	s_mov_b32 s5, 0
	s_waitcnt lgkmcnt(0)
	s_mul_i32 s11, s11, s33
	s_mul_hi_u32 s12, s10, s33
	s_add_i32 s11, s12, s11
	s_lshl_b64 s[12:13], s[14:15], 4
	s_add_u32 s12, s0, s12
	v_mul_lo_u32 v7, s22, v27
	s_addc_u32 s13, s1, s13
	s_lshl_b64 s[0:1], s[4:5], 4
	s_add_u32 s0, s12, s0
	v_lshlrev_b64 v[1:2], 4, v[1:2]
	s_addc_u32 s1, s13, s1
	v_mov_b32_e32 v3, s1
	v_add_co_u32_e32 v48, vcc, s0, v1
	v_addc_co_u32_e32 v49, vcc, v3, v2, vcc
	v_lshlrev_b64 v[1:2], 4, v[7:8]
	v_add_u32_e32 v7, s22, v7
	v_add_co_u32_e32 v5, vcc, v48, v1
	v_addc_co_u32_e32 v6, vcc, v49, v2, vcc
	v_lshlrev_b64 v[1:2], 4, v[7:8]
	v_add_u32_e32 v7, s22, v7
	v_lshlrev_b64 v[3:4], 4, v[7:8]
	v_add_co_u32_e32 v25, vcc, v48, v1
	v_add_u32_e32 v7, s22, v7
	v_addc_co_u32_e32 v26, vcc, v49, v2, vcc
	v_lshlrev_b64 v[9:10], 4, v[7:8]
	v_add_co_u32_e32 v32, vcc, v48, v3
	v_add_u32_e32 v7, s22, v7
	v_addc_co_u32_e32 v33, vcc, v49, v4, vcc
	;; [unrolled: 4-line block ×3, first 2 shown]
	v_lshlrev_b64 v[13:14], 4, v[7:8]
	v_add_co_u32_e32 v36, vcc, v48, v11
	v_addc_co_u32_e32 v37, vcc, v49, v12, vcc
	v_add_co_u32_e32 v38, vcc, v48, v13
	v_add_u32_e32 v7, s22, v7
	v_addc_co_u32_e32 v39, vcc, v49, v14, vcc
	global_load_dwordx4 v[1:4], v[5:6], off
	global_load_dwordx4 v[9:12], v[25:26], off
	;; [unrolled: 1-line block ×6, first 2 shown]
	v_lshlrev_b64 v[5:6], 4, v[7:8]
	v_add_u32_e32 v7, s22, v7
	v_add_co_u32_e32 v5, vcc, v48, v5
	v_lshlrev_b64 v[25:26], 4, v[7:8]
	v_addc_co_u32_e32 v6, vcc, v49, v6, vcc
	v_add_co_u32_e32 v25, vcc, v48, v25
	v_add_u32_e32 v7, s22, v7
	v_addc_co_u32_e32 v26, vcc, v49, v26, vcc
	global_load_dwordx4 v[32:35], v[5:6], off
	global_load_dwordx4 v[36:39], v[25:26], off
	v_lshlrev_b64 v[5:6], 4, v[7:8]
	v_add_u32_e32 v7, s22, v7
	v_add_co_u32_e32 v5, vcc, v48, v5
	v_lshlrev_b64 v[25:26], 4, v[7:8]
	v_addc_co_u32_e32 v6, vcc, v49, v6, vcc
	v_add_co_u32_e32 v25, vcc, v48, v25
	v_add_u32_e32 v7, s22, v7
	v_addc_co_u32_e32 v26, vcc, v49, v26, vcc
	global_load_dwordx4 v[40:43], v[5:6], off
	global_load_dwordx4 v[44:47], v[25:26], off
	v_lshlrev_b64 v[5:6], 4, v[7:8]
	s_mov_b32 s0, 0xba2e8ba3
	v_add_co_u32_e32 v5, vcc, v48, v5
	v_addc_co_u32_e32 v6, vcc, v49, v6, vcc
	global_load_dwordx4 v[48:51], v[5:6], off
	v_mul_u32_u24_e32 v5, 0x790, v27
	v_lshlrev_b32_e32 v6, 4, v52
	v_add3_u32 v5, 0, v5, v6
	s_mov_b32 s14, 0x43842ef
	s_mov_b32 s24, 0xbb3a28a1
	;; [unrolled: 1-line block ×17, first 2 shown]
	s_movk_i32 s4, 0xa0
	s_mul_i32 s10, s10, s33
	s_waitcnt vmcnt(10)
	ds_write_b128 v5, v[1:4]
	v_mul_u32_u24_e32 v2, 0x1746, v0
	v_lshrrev_b32_e32 v27, 16, v2
	v_add_u32_e32 v2, s6, v27
	v_mul_hi_u32 v3, v2, s0
	v_add_u32_e32 v1, 0x1800, v5
	v_add_u32_e32 v4, 0x2000, v5
	s_waitcnt vmcnt(9)
	ds_write_b128 v5, v[9:12] offset:1936
	s_waitcnt vmcnt(8)
	ds_write_b128 v5, v[13:16] offset:3872
	v_lshrrev_b32_e32 v3, 3, v3
	v_mul_lo_u32 v3, v3, 11
	s_waitcnt vmcnt(7)
	ds_write_b128 v5, v[17:20] offset:5808
	s_waitcnt vmcnt(6)
	ds_write2_b64 v1, v[21:22], v[23:24] offset0:200 offset1:201
	s_waitcnt vmcnt(5)
	ds_write2_b64 v4, v[28:29], v[30:31] offset0:186 offset1:187
	s_mov_b32 s0, 0x640f44db
	s_mov_b32 s1, 0xbfc2375f
	v_sub_u32_e32 v1, v2, v3
	v_add_u32_e32 v2, 0x2800, v5
	v_mul_u32_u24_e32 v1, 0x79, v1
	s_mul_i32 s6, s16, s6
	s_waitcnt vmcnt(4)
	ds_write2_b64 v2, v[32:33], v[34:35] offset0:172 offset1:173
	v_add_u32_e32 v2, 0x3000, v5
	s_waitcnt vmcnt(3)
	ds_write2_b64 v2, v[36:37], v[38:39] offset0:158 offset1:159
	v_add_u32_e32 v2, 0x3800, v5
	;; [unrolled: 3-line block ×4, first 2 shown]
	s_waitcnt vmcnt(0)
	ds_write2_b64 v2, v[48:49], v[50:51] offset0:116 offset1:117
	v_mul_lo_u16_e32 v2, 11, v27
	v_sub_u16_e32 v28, v0, v2
	v_lshlrev_b32_e32 v0, 4, v1
	v_lshlrev_b32_e32 v1, 4, v28
	v_add3_u32 v30, 0, v0, v1
	s_waitcnt lgkmcnt(0)
	s_barrier
	v_add3_u32 v29, 0, v1, v0
	ds_read_b128 v[4:7], v30
	ds_read_b128 v[9:12], v29 offset:176
	ds_read_b128 v[13:16], v29 offset:352
	;; [unrolled: 1-line block ×9, first 2 shown]
	s_waitcnt lgkmcnt(8)
	v_add_f64 v[0:1], v[4:5], v[9:10]
	v_add_f64 v[2:3], v[6:7], v[11:12]
	ds_read_b128 v[51:54], v29 offset:1760
	s_waitcnt lgkmcnt(2)
	v_add_f64 v[59:60], v[23:24], -v[49:50]
	v_add_f64 v[25:26], v[31:32], v[43:44]
	v_add_f64 v[61:62], v[31:32], -v[43:44]
	v_add_f64 v[63:64], v[33:34], -v[45:46]
	s_waitcnt lgkmcnt(0)
	v_add_f64 v[55:56], v[9:10], v[51:52]
	v_add_f64 v[0:1], v[0:1], v[13:14]
	;; [unrolled: 1-line block ×6, first 2 shown]
	v_add_f64 v[69:70], v[35:36], -v[39:40]
	v_add_f64 v[71:72], v[37:38], -v[41:42]
	v_mul_f64 v[91:92], v[59:60], s[14:15]
	v_add_f64 v[0:1], v[0:1], v[21:22]
	v_add_f64 v[2:3], v[2:3], v[23:24]
	v_mul_f64 v[97:98], v[63:64], s[24:25]
	s_barrier
	v_add_f64 v[0:1], v[0:1], v[31:32]
	v_add_f64 v[2:3], v[2:3], v[33:34]
	v_add_f64 v[0:1], v[0:1], v[35:36]
	v_add_f64 v[2:3], v[2:3], v[37:38]
	v_add_f64 v[0:1], v[0:1], v[39:40]
	v_add_f64 v[2:3], v[2:3], v[41:42]
	v_add_f64 v[0:1], v[0:1], v[43:44]
	v_add_f64 v[2:3], v[2:3], v[45:46]
	v_add_f64 v[0:1], v[0:1], v[47:48]
	v_add_f64 v[2:3], v[2:3], v[49:50]
	v_add_f64 v[0:1], v[0:1], v[17:18]
	v_add_f64 v[2:3], v[2:3], v[19:20]
	v_add_f64 v[0:1], v[0:1], v[51:52]
	v_add_f64 v[2:3], v[2:3], v[53:54]
	v_add_f64 v[51:52], v[9:10], -v[51:52]
	v_add_f64 v[53:54], v[11:12], -v[53:54]
	v_add_f64 v[9:10], v[15:16], v[19:20]
	v_add_f64 v[19:20], v[15:16], -v[19:20]
	v_add_f64 v[15:16], v[23:24], v[49:50]
	v_add_f64 v[23:24], v[33:34], v[45:46]
	;; [unrolled: 1-line block ×3, first 2 shown]
	v_add_f64 v[13:14], v[13:14], -v[17:18]
	v_mul_f64 v[49:50], v[51:52], s[30:31]
	v_mul_f64 v[31:32], v[53:54], s[30:31]
	;; [unrolled: 1-line block ×6, first 2 shown]
	v_add_f64 v[17:18], v[21:22], v[47:48]
	v_add_f64 v[21:22], v[21:22], -v[47:48]
	v_mul_f64 v[53:54], v[51:52], s[42:43]
	v_fma_f64 v[35:36], v[55:56], s[20:21], -v[31:32]
	v_fma_f64 v[31:32], v[55:56], s[20:21], v[31:32]
	v_fma_f64 v[37:38], v[55:56], s[12:13], -v[33:34]
	v_fma_f64 v[33:34], v[55:56], s[12:13], v[33:34]
	;; [unrolled: 2-line block ×4, first 2 shown]
	v_fma_f64 v[73:74], v[55:56], s[26:27], -v[43:44]
	v_mul_f64 v[75:76], v[51:52], s[14:15]
	v_fma_f64 v[43:44], v[55:56], s[26:27], v[43:44]
	v_mul_f64 v[55:56], v[51:52], s[24:25]
	v_mul_f64 v[51:52], v[51:52], s[28:29]
	v_fma_f64 v[77:78], v[57:58], s[20:21], v[49:50]
	v_mul_f64 v[85:86], v[19:20], s[42:43]
	v_fma_f64 v[49:50], v[57:58], s[20:21], -v[49:50]
	v_fma_f64 v[79:80], v[57:58], s[12:13], v[53:54]
	v_fma_f64 v[53:54], v[57:58], s[12:13], -v[53:54]
	v_fma_f64 v[81:82], v[57:58], s[0:1], v[75:76]
	;; [unrolled: 2-line block ×4, first 2 shown]
	v_fma_f64 v[51:52], v[57:58], s[26:27], -v[51:52]
	v_add_f64 v[35:36], v[4:5], v[35:36]
	v_add_f64 v[57:58], v[6:7], v[77:78]
	v_fma_f64 v[77:78], v[11:12], s[12:13], -v[85:86]
	v_mul_f64 v[89:90], v[13:14], s[42:43]
	v_fma_f64 v[93:94], v[17:18], s[0:1], -v[91:92]
	v_mul_f64 v[95:96], v[21:22], s[14:15]
	v_add_f64 v[99:100], v[4:5], v[39:40]
	v_add_f64 v[101:102], v[4:5], v[47:48]
	;; [unrolled: 1-line block ×5, first 2 shown]
	v_fma_f64 v[77:78], v[9:10], s[12:13], v[89:90]
	v_fma_f64 v[85:86], v[11:12], s[12:13], v[85:86]
	;; [unrolled: 1-line block ×3, first 2 shown]
	v_add_f64 v[105:106], v[4:5], v[43:44]
	v_mul_f64 v[43:44], v[19:20], s[24:25]
	v_add_f64 v[49:50], v[6:7], v[49:50]
	v_add_f64 v[37:38], v[4:5], v[37:38]
	;; [unrolled: 1-line block ×4, first 2 shown]
	v_fma_f64 v[57:58], v[25:26], s[22:23], -v[97:98]
	v_mul_f64 v[77:78], v[61:62], s[24:25]
	v_mul_f64 v[93:94], v[71:72], s[28:29]
	v_add_f64 v[79:80], v[6:7], v[79:80]
	v_add_f64 v[33:34], v[4:5], v[33:34]
	;; [unrolled: 1-line block ×6, first 2 shown]
	v_fma_f64 v[41:42], v[23:24], s[22:23], v[77:78]
	v_fma_f64 v[47:48], v[65:66], s[26:27], -v[93:94]
	v_mul_f64 v[57:58], v[69:70], s[28:29]
	v_add_f64 v[81:82], v[6:7], v[81:82]
	v_add_f64 v[75:76], v[6:7], v[75:76]
	v_add_f64 v[83:84], v[6:7], v[83:84]
	v_add_f64 v[55:56], v[6:7], v[55:56]
	v_add_f64 v[73:74], v[4:5], v[73:74]
	v_add_f64 v[87:88], v[6:7], v[87:88]
	v_add_f64 v[51:52], v[6:7], v[51:52]
	v_add_f64 v[6:7], v[41:42], v[39:40]
	v_add_f64 v[4:5], v[47:48], v[35:36]
	v_fma_f64 v[35:36], v[67:68], s[26:27], v[57:58]
	v_add_f64 v[31:32], v[85:86], v[31:32]
	v_fma_f64 v[39:40], v[9:10], s[12:13], -v[89:90]
	v_fma_f64 v[41:42], v[17:18], s[0:1], v[91:92]
	v_fma_f64 v[47:48], v[11:12], s[22:23], -v[43:44]
	v_mul_f64 v[85:86], v[13:14], s[24:25]
	v_mul_f64 v[89:90], v[59:60], s[40:41]
	;; [unrolled: 1-line block ×3, first 2 shown]
	v_add_f64 v[6:7], v[35:36], v[6:7]
	v_fma_f64 v[43:44], v[11:12], s[22:23], v[43:44]
	v_add_f64 v[35:36], v[39:40], v[49:50]
	v_add_f64 v[31:32], v[41:42], v[31:32]
	v_fma_f64 v[39:40], v[15:16], s[0:1], -v[95:96]
	v_fma_f64 v[41:42], v[25:26], s[22:23], v[97:98]
	v_add_f64 v[37:38], v[47:48], v[37:38]
	v_fma_f64 v[47:48], v[9:10], s[22:23], v[85:86]
	v_fma_f64 v[49:50], v[17:18], s[26:27], -v[89:90]
	v_mul_f64 v[95:96], v[63:64], s[38:39]
	v_add_f64 v[43:44], v[43:44], v[33:34]
	v_add_f64 v[35:36], v[39:40], v[35:36]
	;; [unrolled: 1-line block ×3, first 2 shown]
	v_fma_f64 v[39:40], v[23:24], s[22:23], -v[77:78]
	v_fma_f64 v[41:42], v[65:66], s[26:27], v[93:94]
	v_add_f64 v[47:48], v[47:48], v[79:80]
	v_add_f64 v[37:38], v[49:50], v[37:38]
	v_fma_f64 v[49:50], v[15:16], s[26:27], v[91:92]
	v_fma_f64 v[77:78], v[25:26], s[0:1], -v[95:96]
	v_mul_f64 v[79:80], v[61:62], s[38:39]
	v_mul_f64 v[93:94], v[71:72], s[36:37]
	v_add_f64 v[35:36], v[39:40], v[35:36]
	v_fma_f64 v[39:40], v[67:68], s[26:27], -v[57:58]
	v_add_f64 v[31:32], v[41:42], v[31:32]
	v_mul_f64 v[57:58], v[69:70], s[36:37]
	v_add_f64 v[41:42], v[49:50], v[47:48]
	v_add_f64 v[37:38], v[77:78], v[37:38]
	v_fma_f64 v[47:48], v[23:24], s[0:1], v[79:80]
	v_fma_f64 v[77:78], v[9:10], s[22:23], -v[85:86]
	v_fma_f64 v[49:50], v[65:66], s[20:21], -v[93:94]
	v_fma_f64 v[85:86], v[17:18], s[26:27], v[89:90]
	v_add_f64 v[33:34], v[39:40], v[35:36]
	v_mul_f64 v[89:90], v[19:20], s[40:41]
	v_add_f64 v[39:40], v[47:48], v[41:42]
	v_add_f64 v[41:42], v[77:78], v[53:54]
	v_fma_f64 v[47:48], v[15:16], s[26:27], -v[91:92]
	v_add_f64 v[35:36], v[49:50], v[37:38]
	v_fma_f64 v[37:38], v[67:68], s[20:21], v[57:58]
	v_add_f64 v[43:44], v[85:86], v[43:44]
	v_fma_f64 v[49:50], v[25:26], s[0:1], v[95:96]
	v_fma_f64 v[53:54], v[11:12], s[26:27], -v[89:90]
	v_mul_f64 v[77:78], v[13:14], s[40:41]
	v_mul_f64 v[85:86], v[59:60], s[34:35]
	v_add_f64 v[41:42], v[47:48], v[41:42]
	v_fma_f64 v[47:48], v[23:24], s[0:1], -v[79:80]
	v_add_f64 v[37:38], v[37:38], v[39:40]
	v_mul_f64 v[79:80], v[21:22], s[34:35]
	v_add_f64 v[39:40], v[49:50], v[43:44]
	v_fma_f64 v[43:44], v[65:66], s[20:21], v[93:94]
	v_fma_f64 v[49:50], v[9:10], s[26:27], v[77:78]
	v_add_f64 v[45:46], v[53:54], v[45:46]
	v_fma_f64 v[53:54], v[17:18], s[12:13], -v[85:86]
	v_add_f64 v[41:42], v[47:48], v[41:42]
	v_mul_f64 v[47:48], v[63:64], s[30:31]
	v_fma_f64 v[57:58], v[67:68], s[20:21], -v[57:58]
	v_mul_f64 v[91:92], v[71:72], s[24:25]
	v_add_f64 v[39:40], v[43:44], v[39:40]
	v_add_f64 v[43:44], v[49:50], v[81:82]
	v_fma_f64 v[49:50], v[11:12], s[26:27], v[89:90]
	v_add_f64 v[45:46], v[53:54], v[45:46]
	v_fma_f64 v[53:54], v[15:16], s[12:13], v[79:80]
	v_mul_f64 v[81:82], v[61:62], s[30:31]
	v_fma_f64 v[89:90], v[25:26], s[20:21], -v[47:48]
	v_add_f64 v[41:42], v[57:58], v[41:42]
	v_fma_f64 v[57:58], v[9:10], s[26:27], -v[77:78]
	v_fma_f64 v[77:78], v[17:18], s[12:13], v[85:86]
	v_add_f64 v[49:50], v[49:50], v[99:100]
	v_fma_f64 v[85:86], v[65:66], s[22:23], -v[91:92]
	v_add_f64 v[43:44], v[53:54], v[43:44]
	v_fma_f64 v[53:54], v[23:24], s[20:21], v[81:82]
	v_add_f64 v[45:46], v[89:90], v[45:46]
	v_mul_f64 v[89:90], v[69:70], s[24:25]
	v_add_f64 v[57:58], v[57:58], v[75:76]
	v_fma_f64 v[75:76], v[15:16], s[12:13], -v[79:80]
	v_add_f64 v[49:50], v[77:78], v[49:50]
	v_fma_f64 v[47:48], v[25:26], s[20:21], v[47:48]
	v_mul_f64 v[77:78], v[19:20], s[38:39]
	v_add_f64 v[53:54], v[53:54], v[43:44]
	v_add_f64 v[43:44], v[85:86], v[45:46]
	v_mul_f64 v[79:80], v[13:14], s[38:39]
	v_fma_f64 v[45:46], v[67:68], s[22:23], v[89:90]
	v_add_f64 v[57:58], v[75:76], v[57:58]
	v_fma_f64 v[75:76], v[23:24], s[20:21], -v[81:82]
	v_add_f64 v[47:48], v[47:48], v[49:50]
	v_fma_f64 v[49:50], v[65:66], s[22:23], v[91:92]
	v_fma_f64 v[81:82], v[11:12], s[0:1], -v[77:78]
	v_mul_f64 v[85:86], v[59:60], s[30:31]
	v_fma_f64 v[91:92], v[9:10], s[0:1], v[79:80]
	v_mul_f64 v[93:94], v[21:22], s[30:31]
	v_add_f64 v[45:46], v[45:46], v[53:54]
	v_add_f64 v[53:54], v[75:76], v[57:58]
	v_fma_f64 v[57:58], v[67:68], s[22:23], -v[89:90]
	v_add_f64 v[47:48], v[49:50], v[47:48]
	v_add_f64 v[75:76], v[81:82], v[101:102]
	v_fma_f64 v[81:82], v[17:18], s[20:21], -v[85:86]
	v_add_f64 v[83:84], v[91:92], v[83:84]
	v_fma_f64 v[89:90], v[15:16], s[20:21], v[93:94]
	v_mul_f64 v[91:92], v[63:64], s[28:29]
	v_fma_f64 v[77:78], v[11:12], s[0:1], v[77:78]
	v_add_f64 v[49:50], v[57:58], v[53:54]
	v_fma_f64 v[53:54], v[9:10], s[0:1], -v[79:80]
	v_mul_f64 v[19:20], v[19:20], s[36:37]
	v_mul_f64 v[95:96], v[61:62], s[28:29]
	v_add_f64 v[57:58], v[81:82], v[75:76]
	v_add_f64 v[75:76], v[89:90], v[83:84]
	v_fma_f64 v[79:80], v[25:26], s[26:27], -v[91:92]
	v_add_f64 v[77:78], v[77:78], v[103:104]
	v_fma_f64 v[83:84], v[17:18], s[20:21], v[85:86]
	v_add_f64 v[53:54], v[53:54], v[55:56]
	v_fma_f64 v[55:56], v[15:16], s[20:21], -v[93:94]
	v_fma_f64 v[85:86], v[11:12], s[20:21], -v[19:20]
	v_mul_f64 v[13:14], v[13:14], s[36:37]
	v_fma_f64 v[81:82], v[23:24], s[26:27], v[95:96]
	v_mul_f64 v[59:60], v[59:60], s[24:25]
	v_fma_f64 v[11:12], v[11:12], s[20:21], v[19:20]
	v_add_f64 v[57:58], v[79:80], v[57:58]
	v_add_f64 v[77:78], v[83:84], v[77:78]
	v_fma_f64 v[79:80], v[25:26], s[26:27], v[91:92]
	v_add_f64 v[53:54], v[55:56], v[53:54]
	v_add_f64 v[55:56], v[85:86], v[73:74]
	v_fma_f64 v[73:74], v[9:10], s[20:21], v[13:14]
	v_mul_f64 v[21:22], v[21:22], s[24:25]
	v_fma_f64 v[9:10], v[9:10], s[20:21], -v[13:14]
	v_add_f64 v[75:76], v[81:82], v[75:76]
	v_fma_f64 v[81:82], v[17:18], s[22:23], -v[59:60]
	v_fma_f64 v[13:14], v[23:24], s[26:27], -v[95:96]
	v_add_f64 v[11:12], v[11:12], v[105:106]
	v_fma_f64 v[17:18], v[17:18], s[22:23], v[59:60]
	v_mul_f64 v[19:20], v[63:64], s[34:35]
	v_add_f64 v[63:64], v[79:80], v[77:78]
	v_add_f64 v[73:74], v[73:74], v[87:88]
	v_fma_f64 v[77:78], v[15:16], s[22:23], v[21:22]
	v_add_f64 v[9:10], v[9:10], v[51:52]
	v_fma_f64 v[15:16], v[15:16], s[22:23], -v[21:22]
	v_mul_f64 v[21:22], v[61:62], s[34:35]
	v_add_f64 v[51:52], v[13:14], v[53:54]
	v_mul_f64 v[53:54], v[71:72], s[34:35]
	v_add_f64 v[11:12], v[17:18], v[11:12]
	;; [unrolled: 2-line block ×3, first 2 shown]
	v_fma_f64 v[79:80], v[25:26], s[12:13], -v[19:20]
	v_add_f64 v[13:14], v[77:78], v[73:74]
	v_add_f64 v[9:10], v[15:16], v[9:10]
	v_fma_f64 v[15:16], v[23:24], s[12:13], v[21:22]
	v_mul_f64 v[59:60], v[71:72], s[14:15]
	v_fma_f64 v[19:20], v[25:26], s[12:13], v[19:20]
	v_mul_f64 v[61:62], v[69:70], s[14:15]
	v_fma_f64 v[21:22], v[23:24], s[12:13], -v[21:22]
	v_fma_f64 v[25:26], v[65:66], s[12:13], -v[53:54]
	v_fma_f64 v[23:24], v[67:68], s[12:13], v[17:18]
	v_add_f64 v[55:56], v[79:80], v[55:56]
	v_fma_f64 v[17:18], v[67:68], s[12:13], -v[17:18]
	v_add_f64 v[69:70], v[15:16], v[13:14]
	v_fma_f64 v[71:72], v[65:66], s[0:1], -v[59:60]
	v_add_f64 v[73:74], v[19:20], v[11:12]
	v_fma_f64 v[19:20], v[67:68], s[0:1], v[61:62]
	v_add_f64 v[77:78], v[21:22], v[9:10]
	v_fma_f64 v[21:22], v[65:66], s[0:1], v[59:60]
	v_fma_f64 v[59:60], v[67:68], s[0:1], -v[61:62]
	v_fma_f64 v[53:54], v[65:66], s[12:13], v[53:54]
	v_add_f64 v[9:10], v[25:26], v[57:58]
	v_add_f64 v[11:12], v[23:24], v[75:76]
	v_add_f64 v[15:16], v[17:18], v[51:52]
	v_add_f64 v[17:18], v[71:72], v[55:56]
	v_add_f64 v[19:20], v[19:20], v[69:70]
	v_add_f64 v[21:22], v[21:22], v[73:74]
	v_add_f64 v[23:24], v[59:60], v[77:78]
	v_add_f64 v[13:14], v[53:54], v[63:64]
	v_mad_u32_u24 v25, v28, s4, v29
	ds_write_b128 v25, v[0:3]
	ds_write_b128 v25, v[4:7] offset:16
	ds_write_b128 v25, v[35:38] offset:32
	;; [unrolled: 1-line block ×10, first 2 shown]
	v_mul_u32_u24_e32 v0, 10, v28
	v_lshlrev_b32_e32 v25, 4, v0
	s_waitcnt lgkmcnt(0)
	s_barrier
	global_load_dwordx4 v[0:3], v25, s[8:9]
	global_load_dwordx4 v[4:7], v25, s[8:9] offset:16
	global_load_dwordx4 v[9:12], v25, s[8:9] offset:32
	;; [unrolled: 1-line block ×9, first 2 shown]
	ds_read_b128 v[47:50], v29 offset:176
	ds_read_b128 v[51:54], v30
	ds_read_b128 v[55:58], v29 offset:352
	ds_read_b128 v[59:62], v29 offset:528
	s_mul_i32 s4, s44, s18
	s_waitcnt vmcnt(9) lgkmcnt(3)
	v_mul_f64 v[25:26], v[49:50], v[2:3]
	v_mul_f64 v[2:3], v[47:48], v[2:3]
	s_waitcnt vmcnt(8) lgkmcnt(1)
	v_mul_f64 v[63:64], v[57:58], v[6:7]
	v_mul_f64 v[6:7], v[55:56], v[6:7]
	v_fma_f64 v[25:26], v[47:48], v[0:1], -v[25:26]
	v_fma_f64 v[47:48], v[49:50], v[0:1], v[2:3]
	v_fma_f64 v[49:50], v[55:56], v[4:5], -v[63:64]
	s_waitcnt vmcnt(7) lgkmcnt(0)
	v_mul_f64 v[55:56], v[61:62], v[11:12]
	ds_read_b128 v[0:3], v29 offset:704
	v_fma_f64 v[57:58], v[57:58], v[4:5], v[6:7]
	ds_read_b128 v[4:7], v29 offset:880
	v_mul_f64 v[11:12], v[59:60], v[11:12]
	v_add_f64 v[63:64], v[51:52], v[25:26]
	v_add_f64 v[65:66], v[53:54], v[47:48]
	s_waitcnt vmcnt(6) lgkmcnt(1)
	v_mul_f64 v[67:68], v[2:3], v[15:16]
	v_fma_f64 v[55:56], v[59:60], v[9:10], -v[55:56]
	v_mul_f64 v[15:16], v[0:1], v[15:16]
	v_fma_f64 v[61:62], v[61:62], v[9:10], v[11:12]
	v_add_f64 v[59:60], v[63:64], v[49:50]
	v_add_f64 v[63:64], v[65:66], v[57:58]
	v_fma_f64 v[65:66], v[0:1], v[13:14], -v[67:68]
	s_waitcnt vmcnt(5) lgkmcnt(0)
	v_mul_f64 v[67:68], v[6:7], v[19:20]
	ds_read_b128 v[9:12], v29 offset:1056
	v_fma_f64 v[13:14], v[2:3], v[13:14], v[15:16]
	ds_read_b128 v[0:3], v29 offset:1232
	v_mul_f64 v[15:16], v[4:5], v[19:20]
	v_add_f64 v[59:60], v[59:60], v[55:56]
	v_add_f64 v[19:20], v[63:64], v[61:62]
	s_waitcnt vmcnt(4) lgkmcnt(1)
	v_mul_f64 v[63:64], v[11:12], v[23:24]
	v_fma_f64 v[67:68], v[4:5], v[17:18], -v[67:68]
	v_mul_f64 v[23:24], v[9:10], v[23:24]
	v_fma_f64 v[15:16], v[6:7], v[17:18], v[15:16]
	v_add_f64 v[4:5], v[59:60], v[65:66]
	v_add_f64 v[17:18], v[19:20], v[13:14]
	v_fma_f64 v[19:20], v[9:10], v[21:22], -v[63:64]
	s_waitcnt vmcnt(3) lgkmcnt(0)
	v_mul_f64 v[59:60], v[2:3], v[33:34]
	v_fma_f64 v[21:22], v[11:12], v[21:22], v[23:24]
	v_mul_f64 v[23:24], v[0:1], v[33:34]
	ds_read_b128 v[9:12], v29 offset:1584
	v_add_f64 v[63:64], v[4:5], v[67:68]
	ds_read_b128 v[4:7], v29 offset:1408
	v_add_f64 v[17:18], v[17:18], v[15:16]
	v_fma_f64 v[59:60], v[0:1], v[31:32], -v[59:60]
	v_fma_f64 v[23:24], v[2:3], v[31:32], v[23:24]
	s_waitcnt vmcnt(2) lgkmcnt(0)
	v_mul_f64 v[33:34], v[6:7], v[37:38]
	v_mul_f64 v[37:38], v[4:5], v[37:38]
	v_add_f64 v[63:64], v[63:64], v[19:20]
	s_waitcnt vmcnt(1)
	v_mul_f64 v[30:31], v[11:12], v[41:42]
	v_add_f64 v[17:18], v[17:18], v[21:22]
	ds_read_b128 v[0:3], v29 offset:1760
	s_waitcnt lgkmcnt(0)
	v_add_f64 v[101:102], v[13:14], v[23:24]
	v_fma_f64 v[4:5], v[4:5], v[35:36], -v[33:34]
	v_fma_f64 v[6:7], v[6:7], v[35:36], v[37:38]
	v_add_f64 v[32:33], v[63:64], v[59:60]
	v_mul_f64 v[34:35], v[9:10], v[41:42]
	s_waitcnt vmcnt(0)
	v_mul_f64 v[36:37], v[0:1], v[45:46]
	v_add_f64 v[17:18], v[17:18], v[23:24]
	v_fma_f64 v[9:10], v[9:10], v[39:40], -v[30:31]
	v_mul_f64 v[30:31], v[2:3], v[45:46]
	v_add_f64 v[91:92], v[55:56], -v[4:5]
	v_add_f64 v[89:90], v[61:62], -v[6:7]
	v_add_f64 v[32:33], v[32:33], v[4:5]
	v_fma_f64 v[11:12], v[11:12], v[39:40], v[34:35]
	v_fma_f64 v[34:35], v[2:3], v[43:44], v[36:37]
	v_add_f64 v[2:3], v[17:18], v[6:7]
	v_add_f64 v[87:88], v[49:50], -v[9:10]
	v_fma_f64 v[17:18], v[0:1], v[43:44], -v[30:31]
	v_add_f64 v[55:56], v[55:56], v[4:5]
	v_mul_f64 v[4:5], v[89:90], s[14:15]
	v_add_f64 v[0:1], v[32:33], v[9:10]
	v_add_f64 v[61:62], v[61:62], v[6:7]
	v_add_f64 v[30:31], v[47:48], -v[34:35]
	v_add_f64 v[2:3], v[2:3], v[11:12]
	v_mul_f64 v[6:7], v[91:92], s[14:15]
	v_add_f64 v[32:33], v[25:26], v[17:18]
	v_mul_f64 v[105:106], v[89:90], s[34:35]
	v_fma_f64 v[97:98], v[55:56], s[0:1], -v[4:5]
	v_add_f64 v[0:1], v[0:1], v[17:18]
	v_add_f64 v[17:18], v[25:26], -v[17:18]
	v_mul_f64 v[36:37], v[30:31], s[30:31]
	v_add_f64 v[2:3], v[2:3], v[34:35]
	v_mul_f64 v[38:39], v[30:31], s[42:43]
	v_add_f64 v[34:35], v[47:48], v[34:35]
	v_mul_f64 v[40:41], v[30:31], s[14:15]
	v_mul_f64 v[25:26], v[30:31], s[24:25]
	;; [unrolled: 1-line block ×5, first 2 shown]
	v_fma_f64 v[42:43], v[32:33], s[20:21], -v[36:37]
	v_fma_f64 v[36:37], v[32:33], s[20:21], v[36:37]
	v_fma_f64 v[44:45], v[32:33], s[12:13], -v[38:39]
	v_fma_f64 v[38:39], v[32:33], s[12:13], v[38:39]
	;; [unrolled: 2-line block ×4, first 2 shown]
	v_fma_f64 v[73:74], v[32:33], s[26:27], -v[30:31]
	v_mul_f64 v[75:76], v[17:18], s[14:15]
	v_fma_f64 v[30:31], v[32:33], s[26:27], v[30:31]
	v_mul_f64 v[32:33], v[17:18], s[24:25]
	v_mul_f64 v[17:18], v[17:18], s[28:29]
	v_fma_f64 v[77:78], v[34:35], s[20:21], v[69:70]
	v_fma_f64 v[79:80], v[34:35], s[12:13], v[71:72]
	v_fma_f64 v[69:70], v[34:35], s[20:21], -v[69:70]
	v_fma_f64 v[71:72], v[34:35], s[12:13], -v[71:72]
	v_fma_f64 v[81:82], v[34:35], s[0:1], v[75:76]
	v_fma_f64 v[75:76], v[34:35], s[0:1], -v[75:76]
	v_fma_f64 v[83:84], v[34:35], s[22:23], v[32:33]
	;; [unrolled: 2-line block ×3, first 2 shown]
	v_fma_f64 v[17:18], v[34:35], s[26:27], -v[17:18]
	v_add_f64 v[34:35], v[51:52], v[42:43]
	v_add_f64 v[42:43], v[53:54], v[77:78]
	;; [unrolled: 1-line block ×3, first 2 shown]
	v_add_f64 v[79:80], v[57:58], -v[11:12]
	v_add_f64 v[57:58], v[57:58], v[11:12]
	v_add_f64 v[48:49], v[49:50], v[9:10]
	v_mul_f64 v[11:12], v[87:88], s[42:43]
	v_add_f64 v[36:37], v[51:52], v[36:37]
	v_add_f64 v[69:70], v[53:54], v[69:70]
	;; [unrolled: 1-line block ×4, first 2 shown]
	v_mul_f64 v[9:10], v[79:80], s[42:43]
	v_add_f64 v[71:72], v[53:54], v[71:72]
	v_add_f64 v[46:47], v[51:52], v[46:47]
	v_fma_f64 v[95:96], v[57:58], s[12:13], v[11:12]
	v_add_f64 v[81:82], v[53:54], v[81:82]
	v_add_f64 v[40:41], v[51:52], v[40:41]
	;; [unrolled: 1-line block ×4, first 2 shown]
	v_fma_f64 v[93:94], v[48:49], s[12:13], -v[9:10]
	v_add_f64 v[83:84], v[53:54], v[83:84]
	v_add_f64 v[25:26], v[51:52], v[25:26]
	;; [unrolled: 1-line block ×3, first 2 shown]
	v_add_f64 v[95:96], v[65:66], -v[59:60]
	v_add_f64 v[32:33], v[53:54], v[32:33]
	v_add_f64 v[73:74], v[51:52], v[73:74]
	v_add_f64 v[85:86], v[53:54], v[85:86]
	v_add_f64 v[34:35], v[93:94], v[34:35]
	v_add_f64 v[93:94], v[13:14], -v[23:24]
	v_fma_f64 v[99:100], v[61:62], s[0:1], v[6:7]
	v_add_f64 v[50:51], v[51:52], v[30:31]
	v_add_f64 v[52:53], v[53:54], v[17:18]
	;; [unrolled: 1-line block ×3, first 2 shown]
	v_mul_f64 v[17:18], v[95:96], s[24:25]
	v_fma_f64 v[9:10], v[48:49], s[12:13], v[9:10]
	v_add_f64 v[23:24], v[97:98], v[34:35]
	v_mul_f64 v[13:14], v[93:94], s[24:25]
	v_add_f64 v[34:35], v[15:16], -v[21:22]
	v_add_f64 v[30:31], v[99:100], v[42:43]
	v_add_f64 v[42:43], v[67:68], -v[19:20]
	v_fma_f64 v[11:12], v[57:58], s[12:13], -v[11:12]
	v_fma_f64 v[97:98], v[101:102], s[22:23], v[17:18]
	v_add_f64 v[99:100], v[15:16], v[21:22]
	v_add_f64 v[67:68], v[67:68], v[19:20]
	v_fma_f64 v[65:66], v[59:60], s[22:23], -v[13:14]
	v_mul_f64 v[15:16], v[34:35], s[28:29]
	v_add_f64 v[9:10], v[9:10], v[36:37]
	v_mul_f64 v[19:20], v[42:43], s[28:29]
	v_add_f64 v[11:12], v[11:12], v[69:70]
	v_fma_f64 v[4:5], v[55:56], s[0:1], v[4:5]
	v_fma_f64 v[6:7], v[61:62], s[0:1], -v[6:7]
	v_mul_f64 v[69:70], v[87:88], s[24:25]
	v_add_f64 v[21:22], v[65:66], v[23:24]
	v_add_f64 v[23:24], v[97:98], v[30:31]
	v_fma_f64 v[30:31], v[67:68], s[26:27], -v[15:16]
	v_mul_f64 v[65:66], v[79:80], s[24:25]
	v_fma_f64 v[36:37], v[99:100], s[26:27], v[19:20]
	v_add_f64 v[9:10], v[4:5], v[9:10]
	v_add_f64 v[11:12], v[6:7], v[11:12]
	v_fma_f64 v[13:14], v[59:60], s[22:23], v[13:14]
	v_fma_f64 v[17:18], v[101:102], s[22:23], -v[17:18]
	v_mul_f64 v[107:108], v[91:92], s[34:35]
	v_add_f64 v[4:5], v[30:31], v[21:22]
	v_fma_f64 v[21:22], v[48:49], s[22:23], -v[65:66]
	v_mul_f64 v[30:31], v[89:90], s[40:41]
	v_add_f64 v[6:7], v[36:37], v[23:24]
	v_fma_f64 v[23:24], v[57:58], s[22:23], v[69:70]
	v_mul_f64 v[36:37], v[91:92], s[40:41]
	v_add_f64 v[9:10], v[13:14], v[9:10]
	v_add_f64 v[11:12], v[17:18], v[11:12]
	v_fma_f64 v[13:14], v[67:68], s[26:27], v[15:16]
	v_add_f64 v[17:18], v[21:22], v[44:45]
	v_fma_f64 v[21:22], v[55:56], s[26:27], -v[30:31]
	v_mul_f64 v[44:45], v[93:94], s[38:39]
	v_fma_f64 v[15:16], v[99:100], s[26:27], -v[19:20]
	v_add_f64 v[19:20], v[23:24], v[77:78]
	v_fma_f64 v[23:24], v[61:62], s[26:27], v[36:37]
	v_mul_f64 v[77:78], v[95:96], s[38:39]
	v_add_f64 v[9:10], v[13:14], v[9:10]
	v_fma_f64 v[13:14], v[48:49], s[22:23], v[65:66]
	v_add_f64 v[17:18], v[21:22], v[17:18]
	v_fma_f64 v[21:22], v[59:60], s[0:1], -v[44:45]
	v_add_f64 v[11:12], v[15:16], v[11:12]
	v_fma_f64 v[15:16], v[57:58], s[22:23], -v[69:70]
	v_add_f64 v[19:20], v[23:24], v[19:20]
	v_fma_f64 v[23:24], v[101:102], s[0:1], v[77:78]
	v_mul_f64 v[65:66], v[34:35], s[36:37]
	v_add_f64 v[13:14], v[13:14], v[38:39]
	v_fma_f64 v[30:31], v[55:56], s[26:27], v[30:31]
	v_add_f64 v[17:18], v[21:22], v[17:18]
	v_mul_f64 v[21:22], v[79:80], s[40:41]
	v_mul_f64 v[69:70], v[42:43], s[36:37]
	v_add_f64 v[15:16], v[15:16], v[71:72]
	v_fma_f64 v[36:37], v[61:62], s[26:27], -v[36:37]
	v_add_f64 v[19:20], v[23:24], v[19:20]
	v_mul_f64 v[23:24], v[87:88], s[40:41]
	v_fma_f64 v[38:39], v[67:68], s[20:21], -v[65:66]
	v_add_f64 v[30:31], v[30:31], v[13:14]
	v_fma_f64 v[44:45], v[59:60], s[0:1], v[44:45]
	v_fma_f64 v[97:98], v[48:49], s[26:27], -v[21:22]
	v_fma_f64 v[71:72], v[99:100], s[20:21], v[69:70]
	v_add_f64 v[36:37], v[36:37], v[15:16]
	v_fma_f64 v[77:78], v[101:102], s[0:1], -v[77:78]
	v_fma_f64 v[103:104], v[57:58], s[26:27], v[23:24]
	v_add_f64 v[13:14], v[38:39], v[17:18]
	v_fma_f64 v[38:39], v[55:56], s[12:13], -v[105:106]
	v_add_f64 v[17:18], v[44:45], v[30:31]
	v_add_f64 v[30:31], v[97:98], v[46:47]
	v_mul_f64 v[46:47], v[93:94], s[30:31]
	v_add_f64 v[15:16], v[71:72], v[19:20]
	v_add_f64 v[19:20], v[77:78], v[36:37]
	;; [unrolled: 1-line block ×3, first 2 shown]
	v_fma_f64 v[44:45], v[61:62], s[12:13], v[107:108]
	v_mul_f64 v[71:72], v[95:96], s[30:31]
	v_fma_f64 v[21:22], v[48:49], s[26:27], v[21:22]
	v_add_f64 v[30:31], v[38:39], v[30:31]
	v_fma_f64 v[38:39], v[59:60], s[20:21], -v[46:47]
	v_fma_f64 v[23:24], v[57:58], s[26:27], -v[23:24]
	v_fma_f64 v[65:66], v[67:68], s[20:21], v[65:66]
	v_fma_f64 v[69:70], v[99:100], s[20:21], -v[69:70]
	v_add_f64 v[36:37], v[44:45], v[36:37]
	v_fma_f64 v[44:45], v[101:102], s[20:21], v[71:72]
	v_mul_f64 v[77:78], v[34:35], s[24:25]
	v_mul_f64 v[81:82], v[42:43], s[24:25]
	v_add_f64 v[21:22], v[21:22], v[40:41]
	v_fma_f64 v[40:41], v[55:56], s[12:13], v[105:106]
	v_add_f64 v[30:31], v[38:39], v[30:31]
	v_mul_f64 v[38:39], v[79:80], s[38:39]
	v_add_f64 v[23:24], v[23:24], v[75:76]
	v_fma_f64 v[75:76], v[61:62], s[12:13], -v[107:108]
	v_add_f64 v[17:18], v[65:66], v[17:18]
	v_add_f64 v[36:37], v[44:45], v[36:37]
	v_fma_f64 v[44:45], v[67:68], s[22:23], -v[77:78]
	v_fma_f64 v[65:66], v[99:100], s[22:23], v[81:82]
	v_add_f64 v[40:41], v[40:41], v[21:22]
	v_fma_f64 v[46:47], v[59:60], s[20:21], v[46:47]
	v_add_f64 v[19:20], v[69:70], v[19:20]
	v_fma_f64 v[69:70], v[48:49], s[0:1], -v[38:39]
	v_mul_f64 v[97:98], v[87:88], s[38:39]
	v_mul_f64 v[103:104], v[89:90], s[30:31]
	v_add_f64 v[75:76], v[75:76], v[23:24]
	v_fma_f64 v[71:72], v[101:102], s[20:21], -v[71:72]
	v_add_f64 v[21:22], v[44:45], v[30:31]
	v_add_f64 v[23:24], v[65:66], v[36:37]
	;; [unrolled: 1-line block ×3, first 2 shown]
	v_fma_f64 v[40:41], v[67:68], s[22:23], v[77:78]
	v_add_f64 v[44:45], v[69:70], v[63:64]
	v_fma_f64 v[46:47], v[57:58], s[0:1], v[97:98]
	v_fma_f64 v[63:64], v[55:56], s[20:21], -v[103:104]
	v_mul_f64 v[65:66], v[91:92], s[30:31]
	v_add_f64 v[36:37], v[71:72], v[75:76]
	v_fma_f64 v[38:39], v[48:49], s[0:1], v[38:39]
	v_fma_f64 v[75:76], v[57:58], s[0:1], -v[97:98]
	v_fma_f64 v[69:70], v[99:100], s[22:23], -v[81:82]
	v_add_f64 v[30:31], v[40:41], v[30:31]
	v_add_f64 v[40:41], v[46:47], v[83:84]
	;; [unrolled: 1-line block ×3, first 2 shown]
	v_fma_f64 v[46:47], v[61:62], s[20:21], v[65:66]
	v_mul_f64 v[63:64], v[95:96], s[28:29]
	v_add_f64 v[25:26], v[38:39], v[25:26]
	v_add_f64 v[38:39], v[75:76], v[32:33]
	v_fma_f64 v[65:66], v[61:62], s[20:21], -v[65:66]
	v_mul_f64 v[71:72], v[93:94], s[28:29]
	v_fma_f64 v[75:76], v[55:56], s[20:21], v[103:104]
	v_add_f64 v[32:33], v[69:70], v[36:37]
	v_add_f64 v[36:37], v[46:47], v[40:41]
	v_fma_f64 v[40:41], v[101:102], s[26:27], v[63:64]
	v_mul_f64 v[46:47], v[79:80], s[36:37]
	v_mul_f64 v[69:70], v[87:88], s[36:37]
	v_add_f64 v[38:39], v[65:66], v[38:39]
	v_fma_f64 v[63:64], v[101:102], s[26:27], -v[63:64]
	v_add_f64 v[25:26], v[75:76], v[25:26]
	v_fma_f64 v[65:66], v[59:60], s[26:27], v[71:72]
	v_mul_f64 v[75:76], v[89:90], s[24:25]
	v_add_f64 v[36:37], v[40:41], v[36:37]
	v_fma_f64 v[40:41], v[48:49], s[20:21], -v[46:47]
	v_fma_f64 v[46:47], v[48:49], s[20:21], v[46:47]
	v_fma_f64 v[77:78], v[59:60], s[26:27], -v[71:72]
	v_fma_f64 v[71:72], v[57:58], s[20:21], v[69:70]
	v_mul_f64 v[48:49], v[91:92], s[24:25]
	v_add_f64 v[63:64], v[63:64], v[38:39]
	v_fma_f64 v[38:39], v[57:58], s[20:21], -v[69:70]
	v_add_f64 v[25:26], v[65:66], v[25:26]
	v_fma_f64 v[65:66], v[55:56], s[22:23], -v[75:76]
	v_add_f64 v[46:47], v[46:47], v[50:51]
	v_fma_f64 v[54:55], v[55:56], s[22:23], v[75:76]
	v_add_f64 v[40:41], v[40:41], v[73:74]
	v_add_f64 v[57:58], v[71:72], v[85:86]
	v_fma_f64 v[50:51], v[61:62], s[22:23], v[48:49]
	v_add_f64 v[38:39], v[38:39], v[52:53]
	v_fma_f64 v[48:49], v[61:62], s[22:23], -v[48:49]
	v_mul_f64 v[52:53], v[93:94], s[34:35]
	v_mul_f64 v[61:62], v[95:96], s[34:35]
	;; [unrolled: 1-line block ×3, first 2 shown]
	v_add_f64 v[46:47], v[54:55], v[46:47]
	v_mul_f64 v[54:55], v[42:43], s[34:35]
	v_add_f64 v[40:41], v[65:66], v[40:41]
	v_add_f64 v[50:51], v[50:51], v[57:58]
	v_add_f64 v[38:39], v[48:49], v[38:39]
	v_fma_f64 v[48:49], v[59:60], s[12:13], -v[52:53]
	v_fma_f64 v[52:53], v[59:60], s[12:13], v[52:53]
	v_fma_f64 v[58:59], v[101:102], s[12:13], v[61:62]
	v_mul_f64 v[34:35], v[34:35], s[14:15]
	v_mul_f64 v[42:43], v[42:43], s[14:15]
	v_add_f64 v[44:45], v[77:78], v[44:45]
	v_fma_f64 v[56:57], v[67:68], s[12:13], -v[69:70]
	v_fma_f64 v[60:61], v[101:102], s[12:13], -v[61:62]
	v_fma_f64 v[65:66], v[99:100], s[12:13], v[54:55]
	v_add_f64 v[48:49], v[48:49], v[40:41]
	v_add_f64 v[50:51], v[58:59], v[50:51]
	v_fma_f64 v[58:59], v[67:68], s[0:1], -v[34:35]
	v_fma_f64 v[71:72], v[99:100], s[0:1], v[42:43]
	v_add_f64 v[46:47], v[52:53], v[46:47]
	v_fma_f64 v[69:70], v[67:68], s[12:13], v[69:70]
	v_add_f64 v[52:53], v[60:61], v[38:39]
	;; [unrolled: 2-line block ×3, first 2 shown]
	v_add_f64 v[36:37], v[65:66], v[36:37]
	v_fma_f64 v[67:68], v[99:100], s[0:1], -v[42:43]
	v_add_f64 v[42:43], v[58:59], v[48:49]
	v_add_f64 v[44:45], v[71:72], v[50:51]
	v_fma_f64 v[54:55], v[99:100], s[12:13], -v[54:55]
	s_barrier
	ds_write_b128 v29, v[0:3]
	ds_write_b128 v29, v[4:7] offset:176
	ds_write_b128 v29, v[13:16] offset:352
	;; [unrolled: 1-line block ×5, first 2 shown]
	v_mad_u64_u32 v[4:5], s[0:1], s16, v28, 0
	v_add_f64 v[46:47], v[60:61], v[46:47]
	v_add_f64 v[48:49], v[67:68], v[52:53]
	v_mov_b32_e32 v0, v5
	v_mad_u64_u32 v[0:1], s[0:1], s17, v28, v[0:1]
	v_add_f64 v[38:39], v[69:70], v[25:26]
	v_add_f64 v[40:41], v[54:55], v[63:64]
	s_lshl_b64 s[0:1], s[6:7], 4
	s_add_u32 s2, s2, s0
	s_addc_u32 s3, s3, s1
	s_lshl_b64 s[0:1], s[4:5], 4
	s_add_u32 s2, s2, s0
	v_mov_b32_e32 v5, v0
	v_mul_lo_u32 v7, s19, v27
	s_addc_u32 s3, s3, s1
	s_lshl_b64 s[0:1], s[10:11], 4
	v_mul_u32_u24_e32 v0, 0x790, v28
	v_lshlrev_b32_e32 v1, 4, v27
	s_add_u32 s0, s2, s0
	v_lshlrev_b64 v[4:5], 4, v[4:5]
	v_add3_u32 v6, 0, v0, v1
	s_addc_u32 s1, s3, s1
	ds_write_b128 v29, v[46:49] offset:1056
	ds_write_b128 v29, v[38:41] offset:1232
	;; [unrolled: 1-line block ×5, first 2 shown]
	s_waitcnt lgkmcnt(0)
	s_barrier
	ds_read_b128 v[0:3], v6
	v_mov_b32_e32 v9, s1
	v_add_co_u32_e32 v13, vcc, s0, v4
	v_addc_co_u32_e32 v14, vcc, v9, v5, vcc
	ds_read_b128 v[9:12], v6 offset:176
	v_lshlrev_b64 v[4:5], 4, v[7:8]
	s_mul_i32 s19, s19, 11
	v_add_co_u32_e32 v4, vcc, v13, v4
	v_addc_co_u32_e32 v5, vcc, v14, v5, vcc
	v_add_u32_e32 v7, s19, v7
	s_waitcnt lgkmcnt(1)
	global_store_dwordx4 v[4:5], v[0:3], off
	s_nop 0
	v_lshlrev_b64 v[0:1], 4, v[7:8]
	v_add_u32_e32 v7, s19, v7
	v_add_co_u32_e32 v0, vcc, v13, v0
	v_addc_co_u32_e32 v1, vcc, v14, v1, vcc
	s_waitcnt lgkmcnt(0)
	global_store_dwordx4 v[0:1], v[9:12], off
	ds_read_b128 v[0:3], v6 offset:352
	ds_read_b128 v[9:12], v6 offset:528
	v_lshlrev_b64 v[4:5], 4, v[7:8]
	v_add_u32_e32 v7, s19, v7
	v_add_co_u32_e32 v4, vcc, v13, v4
	v_addc_co_u32_e32 v5, vcc, v14, v5, vcc
	s_waitcnt lgkmcnt(1)
	global_store_dwordx4 v[4:5], v[0:3], off
	s_nop 0
	v_lshlrev_b64 v[0:1], 4, v[7:8]
	v_add_u32_e32 v7, s19, v7
	v_add_co_u32_e32 v0, vcc, v13, v0
	v_addc_co_u32_e32 v1, vcc, v14, v1, vcc
	s_waitcnt lgkmcnt(0)
	global_store_dwordx4 v[0:1], v[9:12], off
	ds_read_b128 v[0:3], v6 offset:704
	ds_read_b128 v[9:12], v6 offset:880
	v_lshlrev_b64 v[4:5], 4, v[7:8]
	v_add_u32_e32 v7, s19, v7
	v_add_co_u32_e32 v4, vcc, v13, v4
	v_addc_co_u32_e32 v5, vcc, v14, v5, vcc
	;; [unrolled: 15-line block ×4, first 2 shown]
	s_waitcnt lgkmcnt(1)
	global_store_dwordx4 v[4:5], v[0:3], off
	s_nop 0
	v_lshlrev_b64 v[0:1], 4, v[7:8]
	v_add_u32_e32 v7, s19, v7
	v_add_co_u32_e32 v0, vcc, v13, v0
	v_addc_co_u32_e32 v1, vcc, v14, v1, vcc
	s_waitcnt lgkmcnt(0)
	global_store_dwordx4 v[0:1], v[9:12], off
	ds_read_b128 v[0:3], v6 offset:1760
	v_lshlrev_b64 v[4:5], 4, v[7:8]
	v_add_co_u32_e32 v4, vcc, v13, v4
	v_addc_co_u32_e32 v5, vcc, v14, v5, vcc
	s_waitcnt lgkmcnt(0)
	global_store_dwordx4 v[4:5], v[0:3], off
	s_endpgm
	.section	.rodata,"a",@progbits
	.p2align	6, 0x0
	.amdhsa_kernel fft_rtc_fwd_len121_factors_11_11_wgs_121_tpt_11_dp_op_CI_CI_sbrc_z_xy_aligned
		.amdhsa_group_segment_fixed_size 0
		.amdhsa_private_segment_fixed_size 0
		.amdhsa_kernarg_size 104
		.amdhsa_user_sgpr_count 6
		.amdhsa_user_sgpr_private_segment_buffer 1
		.amdhsa_user_sgpr_dispatch_ptr 0
		.amdhsa_user_sgpr_queue_ptr 0
		.amdhsa_user_sgpr_kernarg_segment_ptr 1
		.amdhsa_user_sgpr_dispatch_id 0
		.amdhsa_user_sgpr_flat_scratch_init 0
		.amdhsa_user_sgpr_private_segment_size 0
		.amdhsa_uses_dynamic_stack 0
		.amdhsa_system_sgpr_private_segment_wavefront_offset 0
		.amdhsa_system_sgpr_workgroup_id_x 1
		.amdhsa_system_sgpr_workgroup_id_y 0
		.amdhsa_system_sgpr_workgroup_id_z 0
		.amdhsa_system_sgpr_workgroup_info 0
		.amdhsa_system_vgpr_workitem_id 0
		.amdhsa_next_free_vgpr 109
		.amdhsa_next_free_sgpr 45
		.amdhsa_reserve_vcc 1
		.amdhsa_reserve_flat_scratch 0
		.amdhsa_float_round_mode_32 0
		.amdhsa_float_round_mode_16_64 0
		.amdhsa_float_denorm_mode_32 3
		.amdhsa_float_denorm_mode_16_64 3
		.amdhsa_dx10_clamp 1
		.amdhsa_ieee_mode 1
		.amdhsa_fp16_overflow 0
		.amdhsa_exception_fp_ieee_invalid_op 0
		.amdhsa_exception_fp_denorm_src 0
		.amdhsa_exception_fp_ieee_div_zero 0
		.amdhsa_exception_fp_ieee_overflow 0
		.amdhsa_exception_fp_ieee_underflow 0
		.amdhsa_exception_fp_ieee_inexact 0
		.amdhsa_exception_int_div_zero 0
	.end_amdhsa_kernel
	.text
.Lfunc_end0:
	.size	fft_rtc_fwd_len121_factors_11_11_wgs_121_tpt_11_dp_op_CI_CI_sbrc_z_xy_aligned, .Lfunc_end0-fft_rtc_fwd_len121_factors_11_11_wgs_121_tpt_11_dp_op_CI_CI_sbrc_z_xy_aligned
                                        ; -- End function
	.section	.AMDGPU.csdata,"",@progbits
; Kernel info:
; codeLenInByte = 7408
; NumSgprs: 49
; NumVgprs: 109
; ScratchSize: 0
; MemoryBound: 0
; FloatMode: 240
; IeeeMode: 1
; LDSByteSize: 0 bytes/workgroup (compile time only)
; SGPRBlocks: 6
; VGPRBlocks: 27
; NumSGPRsForWavesPerEU: 49
; NumVGPRsForWavesPerEU: 109
; Occupancy: 2
; WaveLimiterHint : 1
; COMPUTE_PGM_RSRC2:SCRATCH_EN: 0
; COMPUTE_PGM_RSRC2:USER_SGPR: 6
; COMPUTE_PGM_RSRC2:TRAP_HANDLER: 0
; COMPUTE_PGM_RSRC2:TGID_X_EN: 1
; COMPUTE_PGM_RSRC2:TGID_Y_EN: 0
; COMPUTE_PGM_RSRC2:TGID_Z_EN: 0
; COMPUTE_PGM_RSRC2:TIDIG_COMP_CNT: 0
	.type	__hip_cuid_88d65ac47aee7cc2,@object ; @__hip_cuid_88d65ac47aee7cc2
	.section	.bss,"aw",@nobits
	.globl	__hip_cuid_88d65ac47aee7cc2
__hip_cuid_88d65ac47aee7cc2:
	.byte	0                               ; 0x0
	.size	__hip_cuid_88d65ac47aee7cc2, 1

	.ident	"AMD clang version 19.0.0git (https://github.com/RadeonOpenCompute/llvm-project roc-6.4.0 25133 c7fe45cf4b819c5991fe208aaa96edf142730f1d)"
	.section	".note.GNU-stack","",@progbits
	.addrsig
	.addrsig_sym __hip_cuid_88d65ac47aee7cc2
	.amdgpu_metadata
---
amdhsa.kernels:
  - .args:
      - .actual_access:  read_only
        .address_space:  global
        .offset:         0
        .size:           8
        .value_kind:     global_buffer
      - .offset:         8
        .size:           8
        .value_kind:     by_value
      - .actual_access:  read_only
        .address_space:  global
        .offset:         16
        .size:           8
        .value_kind:     global_buffer
      - .actual_access:  read_only
        .address_space:  global
        .offset:         24
        .size:           8
        .value_kind:     global_buffer
      - .actual_access:  read_only
        .address_space:  global
        .offset:         32
        .size:           8
        .value_kind:     global_buffer
      - .offset:         40
        .size:           8
        .value_kind:     by_value
      - .actual_access:  read_only
        .address_space:  global
        .offset:         48
        .size:           8
        .value_kind:     global_buffer
      - .actual_access:  read_only
        .address_space:  global
        .offset:         56
        .size:           8
        .value_kind:     global_buffer
      - .offset:         64
        .size:           4
        .value_kind:     by_value
      - .actual_access:  read_only
        .address_space:  global
        .offset:         72
        .size:           8
        .value_kind:     global_buffer
      - .actual_access:  read_only
        .address_space:  global
        .offset:         80
        .size:           8
        .value_kind:     global_buffer
      - .actual_access:  read_only
        .address_space:  global
        .offset:         88
        .size:           8
        .value_kind:     global_buffer
      - .actual_access:  write_only
        .address_space:  global
        .offset:         96
        .size:           8
        .value_kind:     global_buffer
    .group_segment_fixed_size: 0
    .kernarg_segment_align: 8
    .kernarg_segment_size: 104
    .language:       OpenCL C
    .language_version:
      - 2
      - 0
    .max_flat_workgroup_size: 121
    .name:           fft_rtc_fwd_len121_factors_11_11_wgs_121_tpt_11_dp_op_CI_CI_sbrc_z_xy_aligned
    .private_segment_fixed_size: 0
    .sgpr_count:     49
    .sgpr_spill_count: 0
    .symbol:         fft_rtc_fwd_len121_factors_11_11_wgs_121_tpt_11_dp_op_CI_CI_sbrc_z_xy_aligned.kd
    .uniform_work_group_size: 1
    .uses_dynamic_stack: false
    .vgpr_count:     109
    .vgpr_spill_count: 0
    .wavefront_size: 64
amdhsa.target:   amdgcn-amd-amdhsa--gfx906
amdhsa.version:
  - 1
  - 2
...

	.end_amdgpu_metadata
